;; amdgpu-corpus repo=zjin-lcf/HeCBench kind=compiled arch=gfx90a opt=O3
	.text
	.amdgcn_target "amdgcn-amd-amdhsa--gfx90a"
	.amdhsa_code_object_version 6
	.section	.text._Z18benchmark_constantIiEvPii,"axG",@progbits,_Z18benchmark_constantIiEvPii,comdat
	.protected	_Z18benchmark_constantIiEvPii ; -- Begin function _Z18benchmark_constantIiEvPii
	.globl	_Z18benchmark_constantIiEvPii
	.p2align	8
	.type	_Z18benchmark_constantIiEvPii,@function
_Z18benchmark_constantIiEvPii:          ; @_Z18benchmark_constantIiEvPii
; %bb.0:
	s_mov_b32 s3, 0
	s_mov_b32 s0, 4
	s_movk_i32 s7, 0x100
	s_mov_b32 s2, s3
	s_mov_b32 s16, s3
	;; [unrolled: 1-line block ×3, first 2 shown]
.LBB0_1:                                ; =>This Inner Loop Header: Depth=1
	s_lshl_b64 s[10:11], s[2:3], 2
	s_getpc_b64 s[8:9]
	s_add_u32 s8, s8, constant_data@rel32@lo+4
	s_addc_u32 s9, s9, constant_data@rel32@hi+12
	s_mov_b32 s1, s3
	s_add_u32 s10, s10, s8
	s_addc_u32 s11, s11, s9
	s_lshl_b64 s[42:43], s[0:1], 2
	s_add_u32 s42, s42, s8
	s_addc_u32 s43, s43, s9
	s_load_dword s1, s[10:11], 0x0
	s_load_dword s20, s[42:43], 0x0
	s_mov_b32 s13, s3
	s_add_i32 s12, s2, 8
	s_add_i32 s14, s0, 8
	s_lshl_b64 s[10:11], s[12:13], 2
	s_waitcnt lgkmcnt(0)
	s_add_i32 s1, s1, s16
	s_add_i32 s20, s20, s18
	s_mov_b32 s15, s3
	s_add_u32 s10, s10, s8
	s_addc_u32 s11, s11, s9
	s_lshl_b64 s[12:13], s[14:15], 2
	s_add_u32 s12, s12, s8
	s_addc_u32 s13, s13, s9
	s_load_dword s14, s[10:11], 0x0
	s_mov_b32 s17, s3
	s_load_dword s12, s[12:13], 0x0
	s_add_i32 s16, s2, 16
	s_add_i32 s18, s0, 16
	s_lshl_b64 s[10:11], s[16:17], 2
	s_waitcnt lgkmcnt(0)
	s_add_i32 s14, s14, s1
	s_add_i32 s1, s12, s20
	s_mov_b32 s19, s3
	s_add_u32 s10, s10, s8
	s_addc_u32 s11, s11, s9
	s_lshl_b64 s[12:13], s[18:19], 2
	s_add_u32 s12, s12, s8
	s_addc_u32 s13, s13, s9
	s_load_dword s15, s[10:11], 0x0
	s_mov_b32 s21, s3
	s_load_dword s12, s[12:13], 0x0
	;; [unrolled: 15-line block ×6, first 2 shown]
	s_add_i32 s38, s2, 56
	s_add_i32 s40, s0, 56
	s_lshl_b64 s[10:11], s[38:39], 2
	s_waitcnt lgkmcnt(0)
	s_add_i32 s15, s15, s14
	s_add_i32 s1, s12, s1
	s_mov_b32 s41, s3
	s_add_u32 s10, s10, s8
	s_addc_u32 s11, s11, s9
	s_lshl_b64 s[12:13], s[40:41], 2
	s_add_u32 s8, s12, s8
	s_addc_u32 s9, s13, s9
	s_load_dword s10, s[10:11], 0x0
	s_add_i32 s2, s2, 64
	s_load_dword s8, s[8:9], 0x0
	s_add_i32 s0, s0, 64
	s_add_i32 s7, s7, -16
	s_waitcnt lgkmcnt(0)
	s_add_i32 s16, s10, s15
	s_add_i32 s18, s8, s1
	s_cmp_lg_u32 s7, 0
	s_cbranch_scc1 .LBB0_1
; %bb.2:
	s_add_i32 s12, s16, s18
	s_mov_b32 s7, 4
	s_mov_b32 s1, 0
	s_movk_i32 s20, 0x100
	s_mov_b32 s21, 0
	s_mov_b32 s14, 0
.LBB0_3:                                ; =>This Inner Loop Header: Depth=1
	s_or_b32 s8, s7, 1
	s_or_b32 s0, s21, 1
	s_getpc_b64 s[2:3]
	s_add_u32 s2, s2, constant_data@rel32@lo+4
	s_addc_u32 s3, s3, constant_data@rel32@hi+12
	s_lshl_b64 s[26:27], s[0:1], 2
	s_mov_b32 s9, s1
	s_add_u32 s26, s26, s2
	s_addc_u32 s27, s27, s3
	s_lshl_b64 s[8:9], s[8:9], 2
	s_add_u32 s8, s8, s2
	s_addc_u32 s9, s9, s3
	s_load_dword s16, s[26:27], 0x0
	s_load_dword s18, s[8:9], 0x0
	s_add_i32 s0, s21, 9
	s_add_i32 s10, s7, 9
	s_lshl_b64 s[8:9], s[0:1], 2
	s_waitcnt lgkmcnt(0)
	s_add_i32 s16, s16, s12
	s_add_i32 s18, s18, s14
	s_mov_b32 s11, s1
	s_add_u32 s8, s8, s2
	s_addc_u32 s9, s9, s3
	s_lshl_b64 s[10:11], s[10:11], 2
	s_add_u32 s10, s10, s2
	s_addc_u32 s11, s11, s3
	s_load_dword s14, s[8:9], 0x0
	s_add_i32 s0, s21, 17
	s_load_dword s10, s[10:11], 0x0
	s_add_i32 s12, s7, 17
	s_lshl_b64 s[8:9], s[0:1], 2
	s_waitcnt lgkmcnt(0)
	s_add_i32 s16, s14, s16
	s_mov_b32 s13, s1
	s_add_i32 s18, s10, s18
	s_add_u32 s8, s8, s2
	s_addc_u32 s9, s9, s3
	s_lshl_b64 s[10:11], s[12:13], 2
	s_add_u32 s10, s10, s2
	s_addc_u32 s11, s11, s3
	s_load_dword s12, s[8:9], 0x0
	s_add_i32 s0, s21, 25
	s_load_dword s10, s[10:11], 0x0
	s_add_i32 s14, s7, 25
	s_lshl_b64 s[8:9], s[0:1], 2
	s_waitcnt lgkmcnt(0)
	s_add_i32 s12, s12, s16
	s_mov_b32 s15, s1
	s_add_i32 s13, s10, s18
	;; [unrolled: 14-line block ×6, first 2 shown]
	s_add_u32 s8, s8, s2
	s_addc_u32 s9, s9, s3
	s_lshl_b64 s[10:11], s[24:25], 2
	s_add_u32 s2, s10, s2
	s_addc_u32 s3, s11, s3
	s_load_dword s8, s[8:9], 0x0
	s_add_i32 s21, s21, 64
	s_load_dword s2, s[2:3], 0x0
	s_add_i32 s7, s7, 64
	s_add_i32 s20, s20, -16
	s_waitcnt lgkmcnt(0)
	s_add_i32 s12, s8, s13
	s_add_i32 s14, s2, s0
	s_cmp_lg_u32 s20, 0
	s_cbranch_scc1 .LBB0_3
; %bb.4:
	s_add_i32 s12, s12, s14
	s_mov_b32 s7, 4
	s_mov_b32 s1, 0
	s_movk_i32 s20, 0x100
	s_mov_b32 s21, 0
	s_mov_b32 s14, 0
.LBB0_5:                                ; =>This Inner Loop Header: Depth=1
	s_or_b32 s8, s7, 2
	s_or_b32 s0, s21, 2
	s_getpc_b64 s[2:3]
	s_add_u32 s2, s2, constant_data@rel32@lo+4
	s_addc_u32 s3, s3, constant_data@rel32@hi+12
	s_lshl_b64 s[26:27], s[0:1], 2
	s_mov_b32 s9, s1
	s_add_u32 s26, s26, s2
	s_addc_u32 s27, s27, s3
	s_lshl_b64 s[8:9], s[8:9], 2
	s_add_u32 s8, s8, s2
	s_addc_u32 s9, s9, s3
	s_load_dword s16, s[26:27], 0x0
	s_load_dword s18, s[8:9], 0x0
	s_add_i32 s0, s21, 10
	s_add_i32 s10, s7, 10
	s_lshl_b64 s[8:9], s[0:1], 2
	s_waitcnt lgkmcnt(0)
	s_add_i32 s16, s16, s12
	s_add_i32 s18, s18, s14
	s_mov_b32 s11, s1
	s_add_u32 s8, s8, s2
	s_addc_u32 s9, s9, s3
	s_lshl_b64 s[10:11], s[10:11], 2
	s_add_u32 s10, s10, s2
	s_addc_u32 s11, s11, s3
	s_load_dword s14, s[8:9], 0x0
	s_add_i32 s0, s21, 18
	s_load_dword s10, s[10:11], 0x0
	s_add_i32 s12, s7, 18
	s_lshl_b64 s[8:9], s[0:1], 2
	s_waitcnt lgkmcnt(0)
	s_add_i32 s16, s14, s16
	s_mov_b32 s13, s1
	s_add_i32 s18, s10, s18
	s_add_u32 s8, s8, s2
	s_addc_u32 s9, s9, s3
	s_lshl_b64 s[10:11], s[12:13], 2
	s_add_u32 s10, s10, s2
	s_addc_u32 s11, s11, s3
	s_load_dword s12, s[8:9], 0x0
	s_add_i32 s0, s21, 26
	s_load_dword s10, s[10:11], 0x0
	s_add_i32 s14, s7, 26
	s_lshl_b64 s[8:9], s[0:1], 2
	s_waitcnt lgkmcnt(0)
	s_add_i32 s12, s12, s16
	s_mov_b32 s15, s1
	s_add_i32 s13, s10, s18
	;; [unrolled: 14-line block ×6, first 2 shown]
	s_add_u32 s8, s8, s2
	s_addc_u32 s9, s9, s3
	s_lshl_b64 s[10:11], s[24:25], 2
	s_add_u32 s2, s10, s2
	s_addc_u32 s3, s11, s3
	s_load_dword s8, s[8:9], 0x0
	s_add_i32 s21, s21, 64
	s_load_dword s2, s[2:3], 0x0
	s_add_i32 s7, s7, 64
	s_add_i32 s20, s20, -16
	s_waitcnt lgkmcnt(0)
	s_add_i32 s12, s8, s13
	s_add_i32 s14, s2, s0
	s_cmp_lg_u32 s20, 0
	s_cbranch_scc1 .LBB0_5
; %bb.6:
	s_add_i32 s12, s12, s14
	s_mov_b32 s7, 4
	s_mov_b32 s1, 0
	s_movk_i32 s20, 0x100
	s_mov_b32 s21, 0
	s_mov_b32 s14, 0
.LBB0_7:                                ; =>This Inner Loop Header: Depth=1
	s_or_b32 s8, s7, 3
	s_or_b32 s0, s21, 3
	s_getpc_b64 s[2:3]
	s_add_u32 s2, s2, constant_data@rel32@lo+4
	s_addc_u32 s3, s3, constant_data@rel32@hi+12
	s_lshl_b64 s[26:27], s[0:1], 2
	s_mov_b32 s9, s1
	s_add_u32 s26, s26, s2
	s_addc_u32 s27, s27, s3
	s_lshl_b64 s[8:9], s[8:9], 2
	s_add_u32 s8, s8, s2
	s_addc_u32 s9, s9, s3
	s_load_dword s16, s[26:27], 0x0
	s_load_dword s18, s[8:9], 0x0
	s_add_i32 s0, s21, 11
	s_add_i32 s10, s7, 11
	s_lshl_b64 s[8:9], s[0:1], 2
	s_waitcnt lgkmcnt(0)
	s_add_i32 s16, s16, s12
	s_add_i32 s18, s18, s14
	s_mov_b32 s11, s1
	s_add_u32 s8, s8, s2
	s_addc_u32 s9, s9, s3
	s_lshl_b64 s[10:11], s[10:11], 2
	s_add_u32 s10, s10, s2
	s_addc_u32 s11, s11, s3
	s_load_dword s14, s[8:9], 0x0
	s_add_i32 s0, s21, 19
	s_load_dword s10, s[10:11], 0x0
	s_add_i32 s12, s7, 19
	s_lshl_b64 s[8:9], s[0:1], 2
	s_waitcnt lgkmcnt(0)
	s_add_i32 s16, s14, s16
	s_mov_b32 s13, s1
	s_add_i32 s18, s10, s18
	s_add_u32 s8, s8, s2
	s_addc_u32 s9, s9, s3
	s_lshl_b64 s[10:11], s[12:13], 2
	s_add_u32 s10, s10, s2
	s_addc_u32 s11, s11, s3
	s_load_dword s12, s[8:9], 0x0
	s_add_i32 s0, s21, 27
	s_load_dword s10, s[10:11], 0x0
	s_add_i32 s14, s7, 27
	s_lshl_b64 s[8:9], s[0:1], 2
	s_waitcnt lgkmcnt(0)
	s_add_i32 s12, s12, s16
	s_mov_b32 s15, s1
	s_add_i32 s13, s10, s18
	;; [unrolled: 14-line block ×6, first 2 shown]
	s_add_u32 s8, s8, s2
	s_addc_u32 s9, s9, s3
	s_lshl_b64 s[10:11], s[24:25], 2
	s_add_u32 s2, s10, s2
	s_addc_u32 s3, s11, s3
	s_load_dword s8, s[8:9], 0x0
	s_add_i32 s21, s21, 64
	s_load_dword s2, s[2:3], 0x0
	s_add_i32 s7, s7, 64
	s_add_i32 s20, s20, -16
	s_waitcnt lgkmcnt(0)
	s_add_i32 s12, s8, s13
	s_add_i32 s14, s2, s0
	s_cmp_lg_u32 s20, 0
	s_cbranch_scc1 .LBB0_7
; %bb.8:
	v_or_b32_e32 v0, s6, v0
	v_cmp_eq_u32_e32 vcc, 0, v0
	s_and_saveexec_b64 s[0:1], vcc
	s_cbranch_execz .LBB0_10
; %bb.9:
	s_load_dwordx2 s[0:1], s[4:5], 0x0
	s_add_i32 s2, s12, s14
	v_mov_b32_e32 v0, 0
	v_mov_b32_e32 v1, s2
	s_waitcnt lgkmcnt(0)
	global_store_dword v0, v1, s[0:1]
.LBB0_10:
	s_endpgm
	.section	.rodata,"a",@progbits
	.p2align	6, 0x0
	.amdhsa_kernel _Z18benchmark_constantIiEvPii
		.amdhsa_group_segment_fixed_size 0
		.amdhsa_private_segment_fixed_size 0
		.amdhsa_kernarg_size 12
		.amdhsa_user_sgpr_count 6
		.amdhsa_user_sgpr_private_segment_buffer 1
		.amdhsa_user_sgpr_dispatch_ptr 0
		.amdhsa_user_sgpr_queue_ptr 0
		.amdhsa_user_sgpr_kernarg_segment_ptr 1
		.amdhsa_user_sgpr_dispatch_id 0
		.amdhsa_user_sgpr_flat_scratch_init 0
		.amdhsa_user_sgpr_kernarg_preload_length 0
		.amdhsa_user_sgpr_kernarg_preload_offset 0
		.amdhsa_user_sgpr_private_segment_size 0
		.amdhsa_uses_dynamic_stack 0
		.amdhsa_system_sgpr_private_segment_wavefront_offset 0
		.amdhsa_system_sgpr_workgroup_id_x 1
		.amdhsa_system_sgpr_workgroup_id_y 0
		.amdhsa_system_sgpr_workgroup_id_z 0
		.amdhsa_system_sgpr_workgroup_info 0
		.amdhsa_system_vgpr_workitem_id 0
		.amdhsa_next_free_vgpr 2
		.amdhsa_next_free_sgpr 44
		.amdhsa_accum_offset 4
		.amdhsa_reserve_vcc 1
		.amdhsa_reserve_flat_scratch 0
		.amdhsa_float_round_mode_32 0
		.amdhsa_float_round_mode_16_64 0
		.amdhsa_float_denorm_mode_32 3
		.amdhsa_float_denorm_mode_16_64 3
		.amdhsa_dx10_clamp 1
		.amdhsa_ieee_mode 1
		.amdhsa_fp16_overflow 0
		.amdhsa_tg_split 0
		.amdhsa_exception_fp_ieee_invalid_op 0
		.amdhsa_exception_fp_denorm_src 0
		.amdhsa_exception_fp_ieee_div_zero 0
		.amdhsa_exception_fp_ieee_overflow 0
		.amdhsa_exception_fp_ieee_underflow 0
		.amdhsa_exception_fp_ieee_inexact 0
		.amdhsa_exception_int_div_zero 0
	.end_amdhsa_kernel
	.section	.text._Z18benchmark_constantIiEvPii,"axG",@progbits,_Z18benchmark_constantIiEvPii,comdat
.Lfunc_end0:
	.size	_Z18benchmark_constantIiEvPii, .Lfunc_end0-_Z18benchmark_constantIiEvPii
                                        ; -- End function
	.section	.AMDGPU.csdata,"",@progbits
; Kernel info:
; codeLenInByte = 2376
; NumSgprs: 48
; NumVgprs: 2
; NumAgprs: 0
; TotalNumVgprs: 2
; ScratchSize: 0
; MemoryBound: 0
; FloatMode: 240
; IeeeMode: 1
; LDSByteSize: 0 bytes/workgroup (compile time only)
; SGPRBlocks: 5
; VGPRBlocks: 0
; NumSGPRsForWavesPerEU: 48
; NumVGPRsForWavesPerEU: 2
; AccumOffset: 4
; Occupancy: 8
; WaveLimiterHint : 0
; COMPUTE_PGM_RSRC2:SCRATCH_EN: 0
; COMPUTE_PGM_RSRC2:USER_SGPR: 6
; COMPUTE_PGM_RSRC2:TRAP_HANDLER: 0
; COMPUTE_PGM_RSRC2:TGID_X_EN: 1
; COMPUTE_PGM_RSRC2:TGID_Y_EN: 0
; COMPUTE_PGM_RSRC2:TGID_Z_EN: 0
; COMPUTE_PGM_RSRC2:TIDIG_COMP_CNT: 0
; COMPUTE_PGM_RSRC3_GFX90A:ACCUM_OFFSET: 0
; COMPUTE_PGM_RSRC3_GFX90A:TG_SPLIT: 0
	.section	.text._Z18benchmark_constantI15HIP_vector_typeIiLj2EEEvPii,"axG",@progbits,_Z18benchmark_constantI15HIP_vector_typeIiLj2EEEvPii,comdat
	.protected	_Z18benchmark_constantI15HIP_vector_typeIiLj2EEEvPii ; -- Begin function _Z18benchmark_constantI15HIP_vector_typeIiLj2EEEvPii
	.globl	_Z18benchmark_constantI15HIP_vector_typeIiLj2EEEvPii
	.p2align	8
	.type	_Z18benchmark_constantI15HIP_vector_typeIiLj2EEEvPii,@function
_Z18benchmark_constantI15HIP_vector_typeIiLj2EEEvPii: ; @_Z18benchmark_constantI15HIP_vector_typeIiLj2EEEvPii
; %bb.0:
	s_mov_b32 s3, 0
	s_mov_b32 s0, 4
	s_movk_i32 s7, 0x80
	s_mov_b32 s2, s3
	s_mov_b32 s16, s3
	;; [unrolled: 1-line block ×5, first 2 shown]
.LBB1_1:                                ; =>This Inner Loop Header: Depth=1
	s_lshl_b64 s[10:11], s[2:3], 3
	s_getpc_b64 s[8:9]
	s_add_u32 s8, s8, constant_data@rel32@lo+4
	s_addc_u32 s9, s9, constant_data@rel32@hi+12
	s_mov_b32 s1, s3
	s_add_u32 s10, s10, s8
	s_addc_u32 s11, s11, s9
	s_lshl_b64 s[42:43], s[0:1], 3
	s_add_u32 s42, s42, s8
	s_addc_u32 s43, s43, s9
	s_load_dwordx2 s[10:11], s[10:11], 0x0
	s_mov_b32 s13, s3
	s_load_dwordx2 s[42:43], s[42:43], 0x0
	s_add_i32 s12, s2, 8
	s_add_i32 s14, s0, 8
	s_lshl_b64 s[12:13], s[12:13], 3
	s_waitcnt lgkmcnt(0)
	s_add_i32 s1, s10, s16
	s_add_i32 s20, s11, s20
	s_add_i32 s24, s42, s18
	s_add_i32 s22, s43, s22
	s_mov_b32 s15, s3
	s_add_u32 s10, s12, s8
	s_addc_u32 s11, s13, s9
	s_lshl_b64 s[12:13], s[14:15], 3
	s_add_u32 s12, s12, s8
	s_addc_u32 s13, s13, s9
	s_load_dwordx2 s[10:11], s[10:11], 0x0
	s_mov_b32 s17, s3
	s_load_dwordx2 s[12:13], s[12:13], 0x0
	s_add_i32 s16, s2, 16
	s_add_i32 s18, s0, 16
	s_lshl_b64 s[14:15], s[16:17], 3
	s_waitcnt lgkmcnt(0)
	s_add_i32 s1, s10, s1
	s_add_i32 s16, s11, s20
	s_add_i32 s17, s12, s24
	s_add_i32 s24, s13, s22
	;; [unrolled: 17-line block ×7, first 2 shown]
	s_mov_b32 s41, s3
	s_add_u32 s10, s14, s8
	s_addc_u32 s11, s15, s9
	s_lshl_b64 s[12:13], s[40:41], 3
	s_add_u32 s8, s12, s8
	s_addc_u32 s9, s13, s9
	s_load_dwordx2 s[10:11], s[10:11], 0x0
	s_add_i32 s2, s2, 64
	s_load_dwordx2 s[8:9], s[8:9], 0x0
	s_add_i32 s0, s0, 64
	s_add_i32 s7, s7, -16
	s_waitcnt lgkmcnt(0)
	s_add_i32 s16, s10, s1
	s_add_i32 s20, s11, s19
	;; [unrolled: 1-line block ×4, first 2 shown]
	s_cmp_lg_u32 s7, 0
	s_cbranch_scc1 .LBB1_1
; %bb.2:
	s_add_i32 s12, s16, s18
	s_add_i32 s14, s20, s22
	s_mov_b32 s7, 4
	s_mov_b32 s1, 0
	s_movk_i32 s24, 0x80
	s_mov_b32 s25, 0
	s_mov_b32 s16, 0
	s_mov_b32 s18, 0
.LBB1_3:                                ; =>This Inner Loop Header: Depth=1
	s_or_b32 s8, s7, 1
	s_or_b32 s0, s25, 1
	s_getpc_b64 s[2:3]
	s_add_u32 s2, s2, constant_data@rel32@lo+4
	s_addc_u32 s3, s3, constant_data@rel32@hi+12
	s_lshl_b64 s[26:27], s[0:1], 3
	s_mov_b32 s9, s1
	s_add_u32 s26, s26, s2
	s_addc_u32 s27, s27, s3
	s_lshl_b64 s[8:9], s[8:9], 3
	s_add_u32 s8, s8, s2
	s_addc_u32 s9, s9, s3
	s_load_dwordx2 s[26:27], s[26:27], 0x0
	s_add_i32 s0, s25, 9
	s_load_dwordx2 s[8:9], s[8:9], 0x0
	s_add_i32 s10, s7, 9
	s_lshl_b64 s[28:29], s[0:1], 3
	s_waitcnt lgkmcnt(0)
	s_add_i32 s20, s26, s12
	s_add_i32 s14, s27, s14
	s_add_i32 s16, s8, s16
	s_add_i32 s18, s9, s18
	s_mov_b32 s11, s1
	s_add_u32 s8, s28, s2
	s_addc_u32 s9, s29, s3
	s_lshl_b64 s[10:11], s[10:11], 3
	s_add_u32 s10, s10, s2
	s_addc_u32 s11, s11, s3
	s_load_dwordx2 s[8:9], s[8:9], 0x0
	s_add_i32 s0, s25, 17
	s_load_dwordx2 s[10:11], s[10:11], 0x0
	s_add_i32 s12, s7, 17
	s_lshl_b64 s[26:27], s[0:1], 3
	s_waitcnt lgkmcnt(0)
	s_add_i32 s20, s8, s20
	s_add_i32 s22, s9, s14
	s_add_i32 s16, s10, s16
	s_add_i32 s18, s11, s18
	;; [unrolled: 16-line block ×7, first 2 shown]
	s_mov_b32 s23, s1
	s_add_u32 s8, s12, s2
	s_addc_u32 s9, s13, s3
	s_lshl_b64 s[10:11], s[22:23], 3
	s_add_u32 s2, s10, s2
	s_addc_u32 s3, s11, s3
	s_load_dwordx2 s[8:9], s[8:9], 0x0
	s_add_i32 s25, s25, 64
	s_load_dwordx2 s[2:3], s[2:3], 0x0
	s_add_i32 s7, s7, 64
	s_add_i32 s24, s24, -16
	s_waitcnt lgkmcnt(0)
	s_add_i32 s12, s8, s0
	s_add_i32 s14, s9, s14
	;; [unrolled: 1-line block ×4, first 2 shown]
	s_cmp_lg_u32 s24, 0
	s_cbranch_scc1 .LBB1_3
; %bb.4:
	s_add_i32 s12, s12, s16
	s_add_i32 s14, s14, s18
	s_mov_b32 s7, 4
	s_mov_b32 s1, 0
	s_movk_i32 s24, 0x80
	s_mov_b32 s25, 0
	s_mov_b32 s16, 0
	;; [unrolled: 1-line block ×3, first 2 shown]
.LBB1_5:                                ; =>This Inner Loop Header: Depth=1
	s_or_b32 s8, s7, 2
	s_or_b32 s0, s25, 2
	s_getpc_b64 s[2:3]
	s_add_u32 s2, s2, constant_data@rel32@lo+4
	s_addc_u32 s3, s3, constant_data@rel32@hi+12
	s_lshl_b64 s[26:27], s[0:1], 3
	s_mov_b32 s9, s1
	s_add_u32 s26, s26, s2
	s_addc_u32 s27, s27, s3
	s_lshl_b64 s[8:9], s[8:9], 3
	s_add_u32 s8, s8, s2
	s_addc_u32 s9, s9, s3
	s_load_dwordx2 s[26:27], s[26:27], 0x0
	s_add_i32 s0, s25, 10
	s_load_dwordx2 s[8:9], s[8:9], 0x0
	s_add_i32 s10, s7, 10
	s_lshl_b64 s[28:29], s[0:1], 3
	s_waitcnt lgkmcnt(0)
	s_add_i32 s20, s26, s12
	s_add_i32 s14, s27, s14
	s_add_i32 s16, s8, s16
	s_add_i32 s18, s9, s18
	s_mov_b32 s11, s1
	s_add_u32 s8, s28, s2
	s_addc_u32 s9, s29, s3
	s_lshl_b64 s[10:11], s[10:11], 3
	s_add_u32 s10, s10, s2
	s_addc_u32 s11, s11, s3
	s_load_dwordx2 s[8:9], s[8:9], 0x0
	s_add_i32 s0, s25, 18
	s_load_dwordx2 s[10:11], s[10:11], 0x0
	s_add_i32 s12, s7, 18
	s_lshl_b64 s[26:27], s[0:1], 3
	s_waitcnt lgkmcnt(0)
	s_add_i32 s20, s8, s20
	s_add_i32 s22, s9, s14
	s_add_i32 s16, s10, s16
	s_add_i32 s18, s11, s18
	;; [unrolled: 16-line block ×7, first 2 shown]
	s_mov_b32 s23, s1
	s_add_u32 s8, s12, s2
	s_addc_u32 s9, s13, s3
	s_lshl_b64 s[10:11], s[22:23], 3
	s_add_u32 s2, s10, s2
	s_addc_u32 s3, s11, s3
	s_load_dwordx2 s[8:9], s[8:9], 0x0
	s_add_i32 s25, s25, 64
	s_load_dwordx2 s[2:3], s[2:3], 0x0
	s_add_i32 s7, s7, 64
	s_add_i32 s24, s24, -16
	s_waitcnt lgkmcnt(0)
	s_add_i32 s12, s8, s0
	s_add_i32 s14, s9, s14
	;; [unrolled: 1-line block ×4, first 2 shown]
	s_cmp_lg_u32 s24, 0
	s_cbranch_scc1 .LBB1_5
; %bb.6:
	s_add_i32 s12, s12, s16
	s_add_i32 s14, s14, s18
	s_mov_b32 s7, 4
	s_mov_b32 s1, 0
	s_movk_i32 s24, 0x80
	s_mov_b32 s25, 0
	s_mov_b32 s16, 0
	;; [unrolled: 1-line block ×3, first 2 shown]
.LBB1_7:                                ; =>This Inner Loop Header: Depth=1
	s_or_b32 s8, s7, 3
	s_or_b32 s0, s25, 3
	s_getpc_b64 s[2:3]
	s_add_u32 s2, s2, constant_data@rel32@lo+4
	s_addc_u32 s3, s3, constant_data@rel32@hi+12
	s_lshl_b64 s[26:27], s[0:1], 3
	s_mov_b32 s9, s1
	s_add_u32 s26, s26, s2
	s_addc_u32 s27, s27, s3
	s_lshl_b64 s[8:9], s[8:9], 3
	s_add_u32 s8, s8, s2
	s_addc_u32 s9, s9, s3
	s_load_dwordx2 s[26:27], s[26:27], 0x0
	s_add_i32 s0, s25, 11
	s_load_dwordx2 s[8:9], s[8:9], 0x0
	s_add_i32 s10, s7, 11
	s_lshl_b64 s[28:29], s[0:1], 3
	s_waitcnt lgkmcnt(0)
	s_add_i32 s20, s26, s12
	s_add_i32 s14, s27, s14
	s_add_i32 s16, s8, s16
	s_add_i32 s18, s9, s18
	s_mov_b32 s11, s1
	s_add_u32 s8, s28, s2
	s_addc_u32 s9, s29, s3
	s_lshl_b64 s[10:11], s[10:11], 3
	s_add_u32 s10, s10, s2
	s_addc_u32 s11, s11, s3
	s_load_dwordx2 s[8:9], s[8:9], 0x0
	s_add_i32 s0, s25, 19
	s_load_dwordx2 s[10:11], s[10:11], 0x0
	s_add_i32 s12, s7, 19
	s_lshl_b64 s[26:27], s[0:1], 3
	s_waitcnt lgkmcnt(0)
	s_add_i32 s20, s8, s20
	s_add_i32 s22, s9, s14
	s_add_i32 s16, s10, s16
	s_add_i32 s18, s11, s18
	;; [unrolled: 16-line block ×7, first 2 shown]
	s_mov_b32 s23, s1
	s_add_u32 s8, s12, s2
	s_addc_u32 s9, s13, s3
	s_lshl_b64 s[10:11], s[22:23], 3
	s_add_u32 s2, s10, s2
	s_addc_u32 s3, s11, s3
	s_load_dwordx2 s[8:9], s[8:9], 0x0
	s_add_i32 s25, s25, 64
	s_load_dwordx2 s[2:3], s[2:3], 0x0
	s_add_i32 s7, s7, 64
	s_add_i32 s24, s24, -16
	s_waitcnt lgkmcnt(0)
	s_add_i32 s12, s8, s0
	s_add_i32 s14, s9, s14
	;; [unrolled: 1-line block ×4, first 2 shown]
	s_cmp_lg_u32 s24, 0
	s_cbranch_scc1 .LBB1_7
; %bb.8:
	v_or_b32_e32 v0, s6, v0
	v_cmp_eq_u32_e32 vcc, 0, v0
	s_and_saveexec_b64 s[0:1], vcc
	s_cbranch_execz .LBB1_10
; %bb.9:
	s_load_dwordx2 s[0:1], s[4:5], 0x0
	s_add_i32 s2, s14, s18
	s_add_i32 s3, s12, s16
	;; [unrolled: 1-line block ×3, first 2 shown]
	v_mov_b32_e32 v0, 0
	v_mov_b32_e32 v1, s2
	s_waitcnt lgkmcnt(0)
	global_store_dword v0, v1, s[0:1]
.LBB1_10:
	s_endpgm
	.section	.rodata,"a",@progbits
	.p2align	6, 0x0
	.amdhsa_kernel _Z18benchmark_constantI15HIP_vector_typeIiLj2EEEvPii
		.amdhsa_group_segment_fixed_size 0
		.amdhsa_private_segment_fixed_size 0
		.amdhsa_kernarg_size 12
		.amdhsa_user_sgpr_count 6
		.amdhsa_user_sgpr_private_segment_buffer 1
		.amdhsa_user_sgpr_dispatch_ptr 0
		.amdhsa_user_sgpr_queue_ptr 0
		.amdhsa_user_sgpr_kernarg_segment_ptr 1
		.amdhsa_user_sgpr_dispatch_id 0
		.amdhsa_user_sgpr_flat_scratch_init 0
		.amdhsa_user_sgpr_kernarg_preload_length 0
		.amdhsa_user_sgpr_kernarg_preload_offset 0
		.amdhsa_user_sgpr_private_segment_size 0
		.amdhsa_uses_dynamic_stack 0
		.amdhsa_system_sgpr_private_segment_wavefront_offset 0
		.amdhsa_system_sgpr_workgroup_id_x 1
		.amdhsa_system_sgpr_workgroup_id_y 0
		.amdhsa_system_sgpr_workgroup_id_z 0
		.amdhsa_system_sgpr_workgroup_info 0
		.amdhsa_system_vgpr_workitem_id 0
		.amdhsa_next_free_vgpr 2
		.amdhsa_next_free_sgpr 44
		.amdhsa_accum_offset 4
		.amdhsa_reserve_vcc 1
		.amdhsa_reserve_flat_scratch 0
		.amdhsa_float_round_mode_32 0
		.amdhsa_float_round_mode_16_64 0
		.amdhsa_float_denorm_mode_32 3
		.amdhsa_float_denorm_mode_16_64 3
		.amdhsa_dx10_clamp 1
		.amdhsa_ieee_mode 1
		.amdhsa_fp16_overflow 0
		.amdhsa_tg_split 0
		.amdhsa_exception_fp_ieee_invalid_op 0
		.amdhsa_exception_fp_denorm_src 0
		.amdhsa_exception_fp_ieee_div_zero 0
		.amdhsa_exception_fp_ieee_overflow 0
		.amdhsa_exception_fp_ieee_underflow 0
		.amdhsa_exception_fp_ieee_inexact 0
		.amdhsa_exception_int_div_zero 0
	.end_amdhsa_kernel
	.section	.text._Z18benchmark_constantI15HIP_vector_typeIiLj2EEEvPii,"axG",@progbits,_Z18benchmark_constantI15HIP_vector_typeIiLj2EEEvPii,comdat
.Lfunc_end1:
	.size	_Z18benchmark_constantI15HIP_vector_typeIiLj2EEEvPii, .Lfunc_end1-_Z18benchmark_constantI15HIP_vector_typeIiLj2EEEvPii
                                        ; -- End function
	.section	.AMDGPU.csdata,"",@progbits
; Kernel info:
; codeLenInByte = 2672
; NumSgprs: 48
; NumVgprs: 2
; NumAgprs: 0
; TotalNumVgprs: 2
; ScratchSize: 0
; MemoryBound: 0
; FloatMode: 240
; IeeeMode: 1
; LDSByteSize: 0 bytes/workgroup (compile time only)
; SGPRBlocks: 5
; VGPRBlocks: 0
; NumSGPRsForWavesPerEU: 48
; NumVGPRsForWavesPerEU: 2
; AccumOffset: 4
; Occupancy: 8
; WaveLimiterHint : 0
; COMPUTE_PGM_RSRC2:SCRATCH_EN: 0
; COMPUTE_PGM_RSRC2:USER_SGPR: 6
; COMPUTE_PGM_RSRC2:TRAP_HANDLER: 0
; COMPUTE_PGM_RSRC2:TGID_X_EN: 1
; COMPUTE_PGM_RSRC2:TGID_Y_EN: 0
; COMPUTE_PGM_RSRC2:TGID_Z_EN: 0
; COMPUTE_PGM_RSRC2:TIDIG_COMP_CNT: 0
; COMPUTE_PGM_RSRC3_GFX90A:ACCUM_OFFSET: 0
; COMPUTE_PGM_RSRC3_GFX90A:TG_SPLIT: 0
	.section	.text._Z18benchmark_constantI15HIP_vector_typeIiLj4EEEvPii,"axG",@progbits,_Z18benchmark_constantI15HIP_vector_typeIiLj4EEEvPii,comdat
	.protected	_Z18benchmark_constantI15HIP_vector_typeIiLj4EEEvPii ; -- Begin function _Z18benchmark_constantI15HIP_vector_typeIiLj4EEEvPii
	.globl	_Z18benchmark_constantI15HIP_vector_typeIiLj4EEEvPii
	.p2align	8
	.type	_Z18benchmark_constantI15HIP_vector_typeIiLj4EEEvPii,@function
_Z18benchmark_constantI15HIP_vector_typeIiLj4EEEvPii: ; @_Z18benchmark_constantI15HIP_vector_typeIiLj4EEEvPii
; %bb.0:
	s_mov_b32 s73, 0
	s_mov_b32 s74, -4
	s_mov_b32 s72, s73
	s_mov_b32 s33, s73
	;; [unrolled: 1-line block ×3, first 2 shown]
	s_getpc_b64 s[34:35]
	s_add_u32 s34, s34, constant_data@rel32@lo+4
	s_addc_u32 s35, s35, constant_data@rel32@hi+12
.LBB2_1:                                ; =>This Inner Loop Header: Depth=1
	s_load_dwordx4 s[0:3], s[34:35], 0x0
	s_load_dwordx4 s[8:11], s[34:35], 0x40
	;; [unrolled: 1-line block ×16, first 2 shown]
	s_waitcnt lgkmcnt(0)
	s_add_i32 s0, s0, s73
	s_add_i32 s1, s1, s72
	;; [unrolled: 1-line block ×65, first 2 shown]
	s_add_u32 s34, s34, 0x400
	s_addc_u32 s35, s35, 0
	s_cmpk_lt_u32 s74, 0xfc
	s_cbranch_scc1 .LBB2_1
; %bb.2:
	s_mov_b32 s2, -4
	s_getpc_b64 s[0:1]
	s_add_u32 s0, s0, constant_data@rel32@lo+20
	s_addc_u32 s1, s1, constant_data@rel32@hi+28
.LBB2_3:                                ; =>This Inner Loop Header: Depth=1
	s_load_dwordx4 s[8:11], s[0:1], 0x0
	s_load_dwordx4 s[12:15], s[0:1], 0x40
	s_load_dwordx4 s[16:19], s[0:1], 0x80
	s_load_dwordx4 s[20:23], s[0:1], 0xc0
	s_load_dwordx4 s[24:27], s[0:1], 0x100
	s_load_dwordx4 s[28:31], s[0:1], 0x140
	s_load_dwordx4 s[36:39], s[0:1], 0x180
	s_load_dwordx4 s[40:43], s[0:1], 0x1c0
	s_waitcnt lgkmcnt(0)
	s_add_i32 s3, s8, s73
	s_add_i32 s8, s9, s72
	s_add_i32 s9, s10, s33
	s_add_i32 s7, s11, s7
	s_add_i32 s7, s15, s7
	s_add_i32 s9, s14, s9
	s_add_i32 s8, s13, s8
	s_add_i32 s3, s12, s3
	s_add_i32 s3, s16, s3
	s_add_i32 s8, s17, s8
	s_add_i32 s9, s18, s9
	s_add_i32 s7, s19, s7
	s_add_i32 s7, s23, s7
	s_add_i32 s9, s22, s9
	s_add_i32 s8, s21, s8
	s_add_i32 s3, s20, s3
	s_add_i32 s3, s24, s3
	s_add_i32 s8, s25, s8
	s_add_i32 s9, s26, s9
	s_add_i32 s7, s27, s7
	s_add_i32 s7, s31, s7
	s_add_i32 s9, s30, s9
	s_add_i32 s8, s29, s8
	s_add_i32 s3, s28, s3
	s_add_i32 s3, s36, s3
	s_add_i32 s8, s37, s8
	s_add_i32 s9, s38, s9
	s_add_i32 s7, s39, s7
	s_add_i32 s7, s43, s7
	s_add_i32 s33, s42, s9
	s_add_i32 s72, s41, s8
	s_add_i32 s73, s40, s3
	s_add_u32 s0, s0, 0x200
	s_addc_u32 s1, s1, 0
	s_add_i32 s2, s2, 32
	s_cmpk_lt_u32 s2, 0xfc
	s_cbranch_scc1 .LBB2_3
; %bb.4:
	s_mov_b32 s2, -4
	s_getpc_b64 s[0:1]
	s_add_u32 s0, s0, constant_data@rel32@lo+36
	s_addc_u32 s1, s1, constant_data@rel32@hi+44
.LBB2_5:                                ; =>This Inner Loop Header: Depth=1
	s_load_dwordx4 s[8:11], s[0:1], 0x0
	s_load_dwordx4 s[12:15], s[0:1], 0x40
	s_load_dwordx4 s[16:19], s[0:1], 0x80
	s_load_dwordx4 s[20:23], s[0:1], 0xc0
	s_load_dwordx4 s[24:27], s[0:1], 0x100
	s_load_dwordx4 s[28:31], s[0:1], 0x140
	s_load_dwordx4 s[36:39], s[0:1], 0x180
	s_load_dwordx4 s[40:43], s[0:1], 0x1c0
	s_waitcnt lgkmcnt(0)
	s_add_i32 s3, s8, s73
	s_add_i32 s8, s9, s72
	s_add_i32 s9, s10, s33
	s_add_i32 s7, s11, s7
	s_add_i32 s7, s15, s7
	s_add_i32 s9, s14, s9
	s_add_i32 s8, s13, s8
	s_add_i32 s3, s12, s3
	s_add_i32 s3, s16, s3
	s_add_i32 s8, s17, s8
	s_add_i32 s9, s18, s9
	s_add_i32 s7, s19, s7
	s_add_i32 s7, s23, s7
	s_add_i32 s9, s22, s9
	s_add_i32 s8, s21, s8
	s_add_i32 s3, s20, s3
	s_add_i32 s3, s24, s3
	s_add_i32 s8, s25, s8
	s_add_i32 s9, s26, s9
	s_add_i32 s7, s27, s7
	s_add_i32 s7, s31, s7
	s_add_i32 s9, s30, s9
	s_add_i32 s8, s29, s8
	s_add_i32 s3, s28, s3
	s_add_i32 s3, s36, s3
	s_add_i32 s8, s37, s8
	s_add_i32 s9, s38, s9
	s_add_i32 s7, s39, s7
	s_add_i32 s7, s43, s7
	s_add_i32 s33, s42, s9
	s_add_i32 s72, s41, s8
	s_add_i32 s73, s40, s3
	s_add_u32 s0, s0, 0x200
	s_addc_u32 s1, s1, 0
	s_add_i32 s2, s2, 32
	s_cmpk_lt_u32 s2, 0xfc
	s_cbranch_scc1 .LBB2_5
	;; [unrolled: 52-line block ×3, first 2 shown]
; %bb.8:
	v_or_b32_e32 v0, s6, v0
	v_cmp_eq_u32_e32 vcc, 0, v0
	s_and_saveexec_b64 s[0:1], vcc
	s_cbranch_execz .LBB2_10
; %bb.9:
	s_load_dwordx2 s[0:1], s[4:5], 0x0
	s_add_i32 s2, s73, s72
	s_add_i32 s2, s2, s33
	;; [unrolled: 1-line block ×3, first 2 shown]
	v_mov_b32_e32 v0, 0
	v_mov_b32_e32 v1, s2
	s_waitcnt lgkmcnt(0)
	global_store_dword v0, v1, s[0:1]
.LBB2_10:
	s_endpgm
	.section	.rodata,"a",@progbits
	.p2align	6, 0x0
	.amdhsa_kernel _Z18benchmark_constantI15HIP_vector_typeIiLj4EEEvPii
		.amdhsa_group_segment_fixed_size 0
		.amdhsa_private_segment_fixed_size 0
		.amdhsa_kernarg_size 12
		.amdhsa_user_sgpr_count 6
		.amdhsa_user_sgpr_private_segment_buffer 1
		.amdhsa_user_sgpr_dispatch_ptr 0
		.amdhsa_user_sgpr_queue_ptr 0
		.amdhsa_user_sgpr_kernarg_segment_ptr 1
		.amdhsa_user_sgpr_dispatch_id 0
		.amdhsa_user_sgpr_flat_scratch_init 0
		.amdhsa_user_sgpr_kernarg_preload_length 0
		.amdhsa_user_sgpr_kernarg_preload_offset 0
		.amdhsa_user_sgpr_private_segment_size 0
		.amdhsa_uses_dynamic_stack 0
		.amdhsa_system_sgpr_private_segment_wavefront_offset 0
		.amdhsa_system_sgpr_workgroup_id_x 1
		.amdhsa_system_sgpr_workgroup_id_y 0
		.amdhsa_system_sgpr_workgroup_id_z 0
		.amdhsa_system_sgpr_workgroup_info 0
		.amdhsa_system_vgpr_workitem_id 0
		.amdhsa_next_free_vgpr 2
		.amdhsa_next_free_sgpr 75
		.amdhsa_accum_offset 4
		.amdhsa_reserve_vcc 1
		.amdhsa_reserve_flat_scratch 0
		.amdhsa_float_round_mode_32 0
		.amdhsa_float_round_mode_16_64 0
		.amdhsa_float_denorm_mode_32 3
		.amdhsa_float_denorm_mode_16_64 3
		.amdhsa_dx10_clamp 1
		.amdhsa_ieee_mode 1
		.amdhsa_fp16_overflow 0
		.amdhsa_tg_split 0
		.amdhsa_exception_fp_ieee_invalid_op 0
		.amdhsa_exception_fp_denorm_src 0
		.amdhsa_exception_fp_ieee_div_zero 0
		.amdhsa_exception_fp_ieee_overflow 0
		.amdhsa_exception_fp_ieee_underflow 0
		.amdhsa_exception_fp_ieee_inexact 0
		.amdhsa_exception_int_div_zero 0
	.end_amdhsa_kernel
	.section	.text._Z18benchmark_constantI15HIP_vector_typeIiLj4EEEvPii,"axG",@progbits,_Z18benchmark_constantI15HIP_vector_typeIiLj4EEEvPii,comdat
.Lfunc_end2:
	.size	_Z18benchmark_constantI15HIP_vector_typeIiLj4EEEvPii, .Lfunc_end2-_Z18benchmark_constantI15HIP_vector_typeIiLj4EEEvPii
                                        ; -- End function
	.section	.AMDGPU.csdata,"",@progbits
; Kernel info:
; codeLenInByte = 1244
; NumSgprs: 79
; NumVgprs: 2
; NumAgprs: 0
; TotalNumVgprs: 2
; ScratchSize: 0
; MemoryBound: 0
; FloatMode: 240
; IeeeMode: 1
; LDSByteSize: 0 bytes/workgroup (compile time only)
; SGPRBlocks: 9
; VGPRBlocks: 0
; NumSGPRsForWavesPerEU: 79
; NumVGPRsForWavesPerEU: 2
; AccumOffset: 4
; Occupancy: 8
; WaveLimiterHint : 0
; COMPUTE_PGM_RSRC2:SCRATCH_EN: 0
; COMPUTE_PGM_RSRC2:USER_SGPR: 6
; COMPUTE_PGM_RSRC2:TRAP_HANDLER: 0
; COMPUTE_PGM_RSRC2:TGID_X_EN: 1
; COMPUTE_PGM_RSRC2:TGID_Y_EN: 0
; COMPUTE_PGM_RSRC2:TGID_Z_EN: 0
; COMPUTE_PGM_RSRC2:TIDIG_COMP_CNT: 0
; COMPUTE_PGM_RSRC3_GFX90A:ACCUM_OFFSET: 0
; COMPUTE_PGM_RSRC3_GFX90A:TG_SPLIT: 0
	.text
	.p2alignl 6, 3212836864
	.fill 256, 4, 3212836864
	.protected	constant_data           ; @constant_data
	.type	constant_data,@object
	.section	.rodata,"a",@progbits
	.globl	constant_data
	.p2align	4, 0x0
constant_data:
	.zero	4096
	.size	constant_data, 4096

	.type	__hip_cuid_609a8ce0538cd358,@object ; @__hip_cuid_609a8ce0538cd358
	.section	.bss,"aw",@nobits
	.globl	__hip_cuid_609a8ce0538cd358
__hip_cuid_609a8ce0538cd358:
	.byte	0                               ; 0x0
	.size	__hip_cuid_609a8ce0538cd358, 1

	.ident	"AMD clang version 19.0.0git (https://github.com/RadeonOpenCompute/llvm-project roc-6.4.0 25133 c7fe45cf4b819c5991fe208aaa96edf142730f1d)"
	.section	".note.GNU-stack","",@progbits
	.addrsig
	.addrsig_sym constant_data
	.addrsig_sym __hip_cuid_609a8ce0538cd358
	.amdgpu_metadata
---
amdhsa.kernels:
  - .agpr_count:     0
    .args:
      - .address_space:  global
        .offset:         0
        .size:           8
        .value_kind:     global_buffer
      - .offset:         8
        .size:           4
        .value_kind:     by_value
    .group_segment_fixed_size: 0
    .kernarg_segment_align: 8
    .kernarg_segment_size: 12
    .language:       OpenCL C
    .language_version:
      - 2
      - 0
    .max_flat_workgroup_size: 1024
    .name:           _Z18benchmark_constantIiEvPii
    .private_segment_fixed_size: 0
    .sgpr_count:     48
    .sgpr_spill_count: 0
    .symbol:         _Z18benchmark_constantIiEvPii.kd
    .uniform_work_group_size: 1
    .uses_dynamic_stack: false
    .vgpr_count:     2
    .vgpr_spill_count: 0
    .wavefront_size: 64
  - .agpr_count:     0
    .args:
      - .address_space:  global
        .offset:         0
        .size:           8
        .value_kind:     global_buffer
      - .offset:         8
        .size:           4
        .value_kind:     by_value
    .group_segment_fixed_size: 0
    .kernarg_segment_align: 8
    .kernarg_segment_size: 12
    .language:       OpenCL C
    .language_version:
      - 2
      - 0
    .max_flat_workgroup_size: 1024
    .name:           _Z18benchmark_constantI15HIP_vector_typeIiLj2EEEvPii
    .private_segment_fixed_size: 0
    .sgpr_count:     48
    .sgpr_spill_count: 0
    .symbol:         _Z18benchmark_constantI15HIP_vector_typeIiLj2EEEvPii.kd
    .uniform_work_group_size: 1
    .uses_dynamic_stack: false
    .vgpr_count:     2
    .vgpr_spill_count: 0
    .wavefront_size: 64
  - .agpr_count:     0
    .args:
      - .address_space:  global
        .offset:         0
        .size:           8
        .value_kind:     global_buffer
      - .offset:         8
        .size:           4
        .value_kind:     by_value
    .group_segment_fixed_size: 0
    .kernarg_segment_align: 8
    .kernarg_segment_size: 12
    .language:       OpenCL C
    .language_version:
      - 2
      - 0
    .max_flat_workgroup_size: 1024
    .name:           _Z18benchmark_constantI15HIP_vector_typeIiLj4EEEvPii
    .private_segment_fixed_size: 0
    .sgpr_count:     79
    .sgpr_spill_count: 0
    .symbol:         _Z18benchmark_constantI15HIP_vector_typeIiLj4EEEvPii.kd
    .uniform_work_group_size: 1
    .uses_dynamic_stack: false
    .vgpr_count:     2
    .vgpr_spill_count: 0
    .wavefront_size: 64
amdhsa.target:   amdgcn-amd-amdhsa--gfx90a
amdhsa.version:
  - 1
  - 2
...

	.end_amdgpu_metadata
